;; amdgpu-corpus repo=ROCm/rocm-examples kind=compiled arch=gfx906 opt=O3
	.amdgcn_target "amdgcn-amd-amdhsa--gfx906"
	.amdhsa_code_object_version 6
	.section	.text._Z15JacobiIterationILi32ELi6EEvPKfS1_S1_S1_S1_iiifPfS2_,"axG",@progbits,_Z15JacobiIterationILi32ELi6EEvPKfS1_S1_S1_S1_iiifPfS2_,comdat
	.protected	_Z15JacobiIterationILi32ELi6EEvPKfS1_S1_S1_S1_iiifPfS2_ ; -- Begin function _Z15JacobiIterationILi32ELi6EEvPKfS1_S1_S1_S1_iiifPfS2_
	.globl	_Z15JacobiIterationILi32ELi6EEvPKfS1_S1_S1_S1_iiifPfS2_
	.p2align	8
	.type	_Z15JacobiIterationILi32ELi6EEvPKfS1_S1_S1_S1_iiifPfS2_,@function
_Z15JacobiIterationILi32ELi6EEvPKfS1_S1_S1_S1_iiifPfS2_: ; @_Z15JacobiIterationILi32ELi6EEvPKfS1_S1_S1_S1_iiifPfS2_
; %bb.0:
	s_load_dword s8, s[4:5], 0x54
	s_load_dwordx4 s[0:3], s[4:5], 0x28
	s_mov_b64 s[16:17], src_shared_base
	s_mov_b64 s[18:19], 0
	s_waitcnt lgkmcnt(0)
	s_lshr_b32 s9, s8, 16
	s_and_b32 s8, s8, 0xffff
	s_mul_i32 s27, s6, s8
	s_mul_i32 s24, s7, s9
	v_add_u32_e32 v7, s27, v0
	v_add_u32_e32 v9, s24, v1
	s_add_i32 s26, s0, -1
	s_add_i32 s25, s1, -1
	v_min_i32_e32 v2, s26, v7
	v_min_i32_e32 v3, s25, v9
	v_mad_u64_u32 v[2:3], s[6:7], v3, s2, v[2:3]
	s_load_dwordx8 s[8:15], s[4:5], 0x0
	s_load_dwordx2 s[6:7], s[4:5], 0x20
	v_ashrrev_i32_e32 v3, 31, v2
	v_lshlrev_b64 v[2:3], 2, v[2:3]
	s_waitcnt lgkmcnt(0)
	v_mov_b32_e32 v5, s9
	v_add_co_u32_e32 v4, vcc, s8, v2
	v_addc_co_u32_e32 v5, vcc, v5, v3, vcc
	global_load_dword v6, v[4:5], off
	v_mul_u32_u24_e32 v4, 34, v1
	v_add_lshl_u32 v8, v4, v0, 2
	v_mov_b32_e32 v5, s17
	v_add_u32_e32 v4, 0x8c, v8
	v_mov_b32_e32 v11, s11
	v_add_co_u32_e32 v10, vcc, s10, v2
	v_addc_co_u32_e32 v11, vcc, v11, v3, vcc
	v_cmp_lt_i32_e32 vcc, 0, v1
	s_waitcnt vmcnt(0)
	flat_store_dword v[4:5], v6
	s_waitcnt vmcnt(0)
	global_load_dword v10, v[10:11], off
	v_add_u32_e32 v6, 0x440, v8
	v_add_u32_e32 v4, 0x4cc, v8
	s_waitcnt vmcnt(0)
	flat_store_dword v[4:5], v10
	s_waitcnt vmcnt(0)
                                        ; implicit-def: $vgpr10
                                        ; implicit-def: $vgpr4
	s_and_saveexec_b64 s[16:17], vcc
	s_xor_b64 s[16:17], exec, s[16:17]
	s_cbranch_execnz .LBB0_7
; %bb.1:
	s_andn2_saveexec_b64 s[16:17], s[16:17]
	s_cbranch_execnz .LBB0_12
.LBB0_2:
	s_or_b64 exec, exec, s[16:17]
	s_and_saveexec_b64 s[16:17], s[18:19]
	s_cbranch_execz .LBB0_4
.LBB0_3:
	v_ashrrev_i32_e32 v5, 31, v4
	v_lshlrev_b64 v[0:1], 2, v[4:5]
	v_mov_b32_e32 v5, s9
	v_add_co_u32_e32 v4, vcc, s8, v0
	v_addc_co_u32_e32 v5, vcc, v5, v1, vcc
	global_load_dword v11, v[4:5], off
	s_mov_b64 s[18:19], src_shared_base
	v_lshlrev_b32_e32 v4, 2, v10
	v_mov_b32_e32 v10, s11
	v_mov_b32_e32 v5, s19
	v_add_co_u32_e32 v0, vcc, s10, v0
	v_addc_co_u32_e32 v1, vcc, v10, v1, vcc
	s_waitcnt vmcnt(0)
	flat_store_dword v[4:5], v11
	s_waitcnt vmcnt(0)
	global_load_dword v0, v[0:1], off
	v_add_u32_e32 v4, 0x440, v4
	s_waitcnt vmcnt(0)
	flat_store_dword v[4:5], v0
	s_waitcnt vmcnt(0)
.LBB0_4:
	s_or_b64 exec, exec, s[16:17]
	v_cmp_gt_i32_e32 vcc, s0, v7
	v_cmp_gt_i32_e64 s[0:1], s1, v9
	s_and_b64 s[0:1], vcc, s[0:1]
	s_waitcnt lgkmcnt(0)
	s_barrier
	s_and_saveexec_b64 s[8:9], s[0:1]
	s_cbranch_execz .LBB0_6
; %bb.5:
	s_mov_b64 s[0:1], src_shared_base
	v_add_u32_e32 v0, 0x88, v8
	v_mov_b32_e32 v1, s1
	flat_load_dword v7, v[0:1] glc
	s_waitcnt vmcnt(0)
	v_add_u32_e32 v0, 0x90, v8
	flat_load_dword v9, v[0:1] glc
	s_waitcnt vmcnt(0)
	v_add_u32_e32 v0, 0x114, v8
	;; [unrolled: 3-line block ×7, first 2 shown]
	flat_load_dword v6, v[0:1] glc
	s_waitcnt vmcnt(0)
	v_mov_b32_e32 v1, s13
	v_add_co_u32_e32 v0, vcc, s12, v2
	v_addc_co_u32_e32 v1, vcc, v1, v3, vcc
	global_load_dword v14, v[0:1], off
	v_mov_b32_e32 v1, s15
	v_add_co_u32_e32 v0, vcc, s14, v2
	v_addc_co_u32_e32 v1, vcc, v1, v3, vcc
	global_load_dword v15, v[0:1], off
	;; [unrolled: 4-line block ×3, first 2 shown]
	s_waitcnt lgkmcnt(0)
	v_add_f32_e32 v5, v7, v9
	v_add_f32_e32 v5, v5, v10
	;; [unrolled: 1-line block ×3, first 2 shown]
	v_mul_f32_e32 v7, 0x3e800000, v5
	v_add_f32_e32 v5, v11, v12
	v_add_f32_e32 v5, v5, v13
	;; [unrolled: 1-line block ×3, first 2 shown]
	v_mul_f32_e32 v8, 0x3e800000, v5
	s_waitcnt vmcnt(1)
	v_mul_f32_e32 v6, v15, v15
	v_mul_f32_e32 v5, v15, v8
	v_fmac_f32_e32 v6, v14, v14
	v_fmac_f32_e32 v5, v7, v14
	v_add_f32_e32 v6, s3, v6
	s_waitcnt vmcnt(0)
	v_add_f32_e32 v9, v4, v5
	v_div_scale_f32 v4, s[0:1], v6, v6, v9
	v_div_scale_f32 v5, vcc, v9, v6, v9
	s_load_dwordx4 s[0:3], s[4:5], 0x38
	v_rcp_f32_e32 v10, v4
	v_fma_f32 v11, -v4, v10, 1.0
	v_fmac_f32_e32 v10, v11, v10
	v_mul_f32_e32 v11, v5, v10
	v_fma_f32 v12, -v4, v11, v5
	v_fmac_f32_e32 v11, v12, v10
	v_fma_f32 v4, -v4, v11, v5
	v_div_fmas_f32 v10, v4, v10, v11
	s_waitcnt lgkmcnt(0)
	v_mov_b32_e32 v5, s1
	v_add_co_u32_e32 v4, vcc, s0, v2
	v_addc_co_u32_e32 v5, vcc, v5, v3, vcc
	v_div_fixup_f32 v6, v10, v6, v9
	v_fma_f32 v7, -v14, v6, v7
	global_store_dword v[4:5], v7, off
	global_load_dword v0, v[0:1], off
	v_mov_b32_e32 v1, s3
	s_waitcnt vmcnt(0)
	v_fma_f32 v4, -v0, v6, v8
	v_add_co_u32_e32 v0, vcc, s2, v2
	v_addc_co_u32_e32 v1, vcc, v1, v3, vcc
	global_store_dword v[0:1], v4, off
.LBB0_6:
	s_endpgm
.LBB0_7:
	v_cmp_eq_u32_e32 vcc, 1, v1
	s_mov_b64 s[20:21], 0
                                        ; implicit-def: $vgpr10
                                        ; implicit-def: $vgpr4
	s_and_saveexec_b64 s[18:19], vcc
	s_cbranch_execz .LBB0_11
; %bb.8:
	v_cmp_gt_u32_e32 vcc, 6, v0
                                        ; implicit-def: $vgpr10
                                        ; implicit-def: $vgpr4
	s_and_saveexec_b64 s[22:23], vcc
	s_xor_b64 s[22:23], exec, s[22:23]
	s_cbranch_execz .LBB0_10
; %bb.9:
	v_add_u32_e32 v1, s24, v0
	v_cvt_f64_i32_e32 v[4:5], s25
	v_cvt_f64_u32_e32 v[10:11], v1
	s_mov_b64 s[28:29], src_shared_base
	s_max_i32 s28, s27, 1
	v_mov_b32_e32 v13, s11
	v_min_f64 v[4:5], v[10:11], v[4:5]
	v_mov_b32_e32 v11, s9
	s_add_i32 s27, s27, 32
	s_min_i32 s27, s27, s26
	s_mov_b64 s[20:21], exec
	v_cvt_i32_f64_e32 v1, v[4:5]
	v_mul_lo_u32 v1, s2, v1
	v_ashrrev_i32_e32 v5, 31, v1
	v_add_co_u32_e32 v4, vcc, s28, v1
	v_addc_co_u32_e32 v5, vcc, 0, v5, vcc
	v_lshlrev_b64 v[4:5], 2, v[4:5]
	v_add_co_u32_e32 v10, vcc, s8, v4
	v_addc_co_u32_e32 v11, vcc, v11, v5, vcc
	global_load_dword v12, v[10:11], off offset:-4
	v_mul_u32_u24_e32 v10, 34, v0
	v_lshlrev_b32_e32 v14, 2, v10
	v_mov_b32_e32 v11, s29
	v_add_u32_e32 v10, 0x88, v14
	v_add_co_u32_e32 v4, vcc, s10, v4
	v_addc_co_u32_e32 v5, vcc, v13, v5, vcc
	s_waitcnt vmcnt(0)
	flat_store_dword v[10:11], v12
	s_waitcnt vmcnt(0)
	global_load_dword v5, v[4:5], off offset:-4
	v_mov_b32_e32 v12, 0x43
	v_add_u32_e32 v10, 0x4c8, v14
	v_add_u32_e32 v4, s27, v1
	s_waitcnt vmcnt(0)
	flat_store_dword v[10:11], v5
	s_waitcnt vmcnt(0)
	v_mad_u32_u24 v10, v0, 34, v12
.LBB0_10:
	s_or_b64 exec, exec, s[22:23]
	s_and_b64 s[20:21], s[20:21], exec
.LBB0_11:
	s_or_b64 exec, exec, s[18:19]
	s_and_b64 s[18:19], s[20:21], exec
                                        ; implicit-def: $vgpr0
	s_andn2_saveexec_b64 s[16:17], s[16:17]
	s_cbranch_execz .LBB0_2
.LBB0_12:
	v_cvt_f64_u32_e32 v[4:5], v7
	v_cvt_f64_i32_e32 v[10:11], s26
	s_mov_b64 s[20:21], src_shared_base
	s_max_i32 s20, s24, 1
	s_add_i32 s20, s20, -1
	v_min_f64 v[4:5], v[4:5], v[10:11]
	s_mul_i32 s20, s20, s2
	v_mov_b32_e32 v11, s9
	v_lshlrev_b32_e32 v13, 2, v0
	v_mov_b32_e32 v14, s11
	v_mov_b32_e32 v12, s21
	s_add_i32 s24, s24, 6
	s_or_b64 s[18:19], s[18:19], exec
	v_cvt_i32_f64_e32 v1, v[4:5]
	v_add_u32_e32 v4, s20, v1
	v_ashrrev_i32_e32 v5, 31, v4
	v_lshlrev_b64 v[4:5], 2, v[4:5]
	s_min_i32 s20, s24, s25
	v_add_co_u32_e32 v10, vcc, s8, v4
	v_addc_co_u32_e32 v11, vcc, v11, v5, vcc
	global_load_dword v10, v[10:11], off
	v_add_u32_e32 v11, 4, v13
	v_add_co_u32_e32 v4, vcc, s10, v4
	v_addc_co_u32_e32 v5, vcc, v14, v5, vcc
	s_mul_i32 s20, s20, s2
	s_waitcnt vmcnt(0)
	flat_store_dword v[11:12], v10
	s_waitcnt vmcnt(0)
	global_load_dword v5, v[4:5], off
	v_add_u32_e32 v10, 0xef, v0
	v_add_u32_e32 v4, s20, v1
	;; [unrolled: 1-line block ×3, first 2 shown]
	s_waitcnt vmcnt(0)
	flat_store_dword v[11:12], v5
	s_waitcnt vmcnt(0)
	s_or_b64 exec, exec, s[16:17]
	s_and_saveexec_b64 s[16:17], s[18:19]
	s_cbranch_execnz .LBB0_3
	s_branch .LBB0_4
	.section	.rodata,"a",@progbits
	.p2align	6, 0x0
	.amdhsa_kernel _Z15JacobiIterationILi32ELi6EEvPKfS1_S1_S1_S1_iiifPfS2_
		.amdhsa_group_segment_fixed_size 2176
		.amdhsa_private_segment_fixed_size 0
		.amdhsa_kernarg_size 328
		.amdhsa_user_sgpr_count 6
		.amdhsa_user_sgpr_private_segment_buffer 1
		.amdhsa_user_sgpr_dispatch_ptr 0
		.amdhsa_user_sgpr_queue_ptr 0
		.amdhsa_user_sgpr_kernarg_segment_ptr 1
		.amdhsa_user_sgpr_dispatch_id 0
		.amdhsa_user_sgpr_flat_scratch_init 0
		.amdhsa_user_sgpr_private_segment_size 0
		.amdhsa_uses_dynamic_stack 0
		.amdhsa_system_sgpr_private_segment_wavefront_offset 0
		.amdhsa_system_sgpr_workgroup_id_x 1
		.amdhsa_system_sgpr_workgroup_id_y 1
		.amdhsa_system_sgpr_workgroup_id_z 0
		.amdhsa_system_sgpr_workgroup_info 0
		.amdhsa_system_vgpr_workitem_id 1
		.amdhsa_next_free_vgpr 29
		.amdhsa_next_free_sgpr 61
		.amdhsa_reserve_vcc 1
		.amdhsa_reserve_flat_scratch 0
		.amdhsa_float_round_mode_32 0
		.amdhsa_float_round_mode_16_64 0
		.amdhsa_float_denorm_mode_32 3
		.amdhsa_float_denorm_mode_16_64 3
		.amdhsa_dx10_clamp 1
		.amdhsa_ieee_mode 1
		.amdhsa_fp16_overflow 0
		.amdhsa_exception_fp_ieee_invalid_op 0
		.amdhsa_exception_fp_denorm_src 0
		.amdhsa_exception_fp_ieee_div_zero 0
		.amdhsa_exception_fp_ieee_overflow 0
		.amdhsa_exception_fp_ieee_underflow 0
		.amdhsa_exception_fp_ieee_inexact 0
		.amdhsa_exception_int_div_zero 0
	.end_amdhsa_kernel
	.section	.text._Z15JacobiIterationILi32ELi6EEvPKfS1_S1_S1_S1_iiifPfS2_,"axG",@progbits,_Z15JacobiIterationILi32ELi6EEvPKfS1_S1_S1_S1_iiifPfS2_,comdat
.Lfunc_end0:
	.size	_Z15JacobiIterationILi32ELi6EEvPKfS1_S1_S1_S1_iiifPfS2_, .Lfunc_end0-_Z15JacobiIterationILi32ELi6EEvPKfS1_S1_S1_S1_iiifPfS2_
                                        ; -- End function
	.set _Z15JacobiIterationILi32ELi6EEvPKfS1_S1_S1_S1_iiifPfS2_.num_vgpr, 16
	.set _Z15JacobiIterationILi32ELi6EEvPKfS1_S1_S1_S1_iiifPfS2_.num_agpr, 0
	.set _Z15JacobiIterationILi32ELi6EEvPKfS1_S1_S1_S1_iiifPfS2_.numbered_sgpr, 30
	.set _Z15JacobiIterationILi32ELi6EEvPKfS1_S1_S1_S1_iiifPfS2_.num_named_barrier, 0
	.set _Z15JacobiIterationILi32ELi6EEvPKfS1_S1_S1_S1_iiifPfS2_.private_seg_size, 0
	.set _Z15JacobiIterationILi32ELi6EEvPKfS1_S1_S1_S1_iiifPfS2_.uses_vcc, 1
	.set _Z15JacobiIterationILi32ELi6EEvPKfS1_S1_S1_S1_iiifPfS2_.uses_flat_scratch, 0
	.set _Z15JacobiIterationILi32ELi6EEvPKfS1_S1_S1_S1_iiifPfS2_.has_dyn_sized_stack, 0
	.set _Z15JacobiIterationILi32ELi6EEvPKfS1_S1_S1_S1_iiifPfS2_.has_recursion, 0
	.set _Z15JacobiIterationILi32ELi6EEvPKfS1_S1_S1_S1_iiifPfS2_.has_indirect_call, 0
	.section	.AMDGPU.csdata,"",@progbits
; Kernel info:
; codeLenInByte = 1288
; TotalNumSgprs: 34
; NumVgprs: 16
; ScratchSize: 0
; MemoryBound: 0
; FloatMode: 240
; IeeeMode: 1
; LDSByteSize: 2176 bytes/workgroup (compile time only)
; SGPRBlocks: 8
; VGPRBlocks: 7
; NumSGPRsForWavesPerEU: 65
; NumVGPRsForWavesPerEU: 29
; Occupancy: 8
; WaveLimiterHint : 0
; COMPUTE_PGM_RSRC2:SCRATCH_EN: 0
; COMPUTE_PGM_RSRC2:USER_SGPR: 6
; COMPUTE_PGM_RSRC2:TRAP_HANDLER: 0
; COMPUTE_PGM_RSRC2:TGID_X_EN: 1
; COMPUTE_PGM_RSRC2:TGID_Y_EN: 1
; COMPUTE_PGM_RSRC2:TGID_Z_EN: 0
; COMPUTE_PGM_RSRC2:TIDIG_COMP_CNT: 1
	.section	.AMDGPU.gpr_maximums,"",@progbits
	.set amdgpu.max_num_vgpr, 0
	.set amdgpu.max_num_agpr, 0
	.set amdgpu.max_num_sgpr, 0
	.section	.AMDGPU.csdata,"",@progbits
	.type	__hip_cuid_ec1bd5552430470e,@object ; @__hip_cuid_ec1bd5552430470e
	.section	.bss,"aw",@nobits
	.globl	__hip_cuid_ec1bd5552430470e
__hip_cuid_ec1bd5552430470e:
	.byte	0                               ; 0x0
	.size	__hip_cuid_ec1bd5552430470e, 1

	.ident	"AMD clang version 22.0.0git (https://github.com/RadeonOpenCompute/llvm-project roc-7.2.4 26084 f58b06dce1f9c15707c5f808fd002e18c2accf7e)"
	.section	".note.GNU-stack","",@progbits
	.addrsig
	.addrsig_sym __hip_cuid_ec1bd5552430470e
	.amdgpu_metadata
---
amdhsa.kernels:
  - .args:
      - .address_space:  global
        .offset:         0
        .size:           8
        .value_kind:     global_buffer
      - .address_space:  global
        .offset:         8
        .size:           8
        .value_kind:     global_buffer
      - .address_space:  global
        .offset:         16
        .size:           8
        .value_kind:     global_buffer
      - .address_space:  global
        .offset:         24
        .size:           8
        .value_kind:     global_buffer
      - .address_space:  global
        .offset:         32
        .size:           8
        .value_kind:     global_buffer
      - .offset:         40
        .size:           4
        .value_kind:     by_value
      - .offset:         44
        .size:           4
        .value_kind:     by_value
      - .offset:         48
        .size:           4
        .value_kind:     by_value
      - .offset:         52
        .size:           4
        .value_kind:     by_value
      - .address_space:  global
        .offset:         56
        .size:           8
        .value_kind:     global_buffer
      - .address_space:  global
        .offset:         64
        .size:           8
        .value_kind:     global_buffer
      - .offset:         72
        .size:           4
        .value_kind:     hidden_block_count_x
      - .offset:         76
        .size:           4
        .value_kind:     hidden_block_count_y
      - .offset:         80
        .size:           4
        .value_kind:     hidden_block_count_z
      - .offset:         84
        .size:           2
        .value_kind:     hidden_group_size_x
      - .offset:         86
        .size:           2
        .value_kind:     hidden_group_size_y
      - .offset:         88
        .size:           2
        .value_kind:     hidden_group_size_z
      - .offset:         90
        .size:           2
        .value_kind:     hidden_remainder_x
      - .offset:         92
        .size:           2
        .value_kind:     hidden_remainder_y
      - .offset:         94
        .size:           2
        .value_kind:     hidden_remainder_z
      - .offset:         112
        .size:           8
        .value_kind:     hidden_global_offset_x
      - .offset:         120
        .size:           8
        .value_kind:     hidden_global_offset_y
      - .offset:         128
        .size:           8
        .value_kind:     hidden_global_offset_z
      - .offset:         136
        .size:           2
        .value_kind:     hidden_grid_dims
    .group_segment_fixed_size: 2176
    .kernarg_segment_align: 8
    .kernarg_segment_size: 328
    .language:       OpenCL C
    .language_version:
      - 2
      - 0
    .max_flat_workgroup_size: 1024
    .name:           _Z15JacobiIterationILi32ELi6EEvPKfS1_S1_S1_S1_iiifPfS2_
    .private_segment_fixed_size: 0
    .sgpr_count:     34
    .sgpr_spill_count: 0
    .symbol:         _Z15JacobiIterationILi32ELi6EEvPKfS1_S1_S1_S1_iiifPfS2_.kd
    .uniform_work_group_size: 1
    .uses_dynamic_stack: false
    .vgpr_count:     16
    .vgpr_spill_count: 0
    .wavefront_size: 64
amdhsa.target:   amdgcn-amd-amdhsa--gfx906
amdhsa.version:
  - 1
  - 2
...

	.end_amdgpu_metadata
